;; amdgpu-corpus repo=llvm/llvm-project kind=harvested arch=n/a opt=n/a
// NOTE: Assertions have been autogenerated by utils/update_mc_test_checks.py UTC_ARGS: --unique --sort --version 6
// RUN: llvm-mc -triple=amdgcn -mcpu=bonaire -show-encoding %s | FileCheck %s

s_addk_i32 exec_hi, 0x3141
// CHECK: s_addk_i32 exec_hi, 0x3141              ; encoding: [0x41,0x31,0xff,0xb7]

s_addk_i32 exec_lo, 0x3141
// CHECK: s_addk_i32 exec_lo, 0x3141              ; encoding: [0x41,0x31,0xfe,0xb7]

s_addk_i32 flat_scratch_hi, 0x3141
// CHECK: s_addk_i32 flat_scratch_hi, 0x3141      ; encoding: [0x41,0x31,0xe9,0xb7]

s_addk_i32 flat_scratch_lo, 0x3141
// CHECK: s_addk_i32 flat_scratch_lo, 0x3141      ; encoding: [0x41,0x31,0xe8,0xb7]

s_addk_i32 m0, 0x3141
// CHECK: s_addk_i32 m0, 0x3141                   ; encoding: [0x41,0x31,0xfc,0xb7]

s_addk_i32 s103, 0x3141
// CHECK: s_addk_i32 s103, 0x3141                 ; encoding: [0x41,0x31,0xe7,0xb7]

s_addk_i32 s5, 0x3141
// CHECK: s_addk_i32 s5, 0x3141                   ; encoding: [0x41,0x31,0x85,0xb7]

s_addk_i32 s5, 0xc1d1
// CHECK: s_addk_i32 s5, 0xc1d1                   ; encoding: [0xd1,0xc1,0x85,0xb7]

s_addk_i32 tba_hi, 0x3141
// CHECK: s_addk_i32 tba_hi, 0x3141               ; encoding: [0x41,0x31,0xed,0xb7]

s_addk_i32 tba_lo, 0x3141
// CHECK: s_addk_i32 tba_lo, 0x3141               ; encoding: [0x41,0x31,0xec,0xb7]

s_addk_i32 tma_hi, 0x3141
// CHECK: s_addk_i32 tma_hi, 0x3141               ; encoding: [0x41,0x31,0xef,0xb7]

s_addk_i32 tma_lo, 0x3141
// CHECK: s_addk_i32 tma_lo, 0x3141               ; encoding: [0x41,0x31,0xee,0xb7]

s_addk_i32 ttmp11, 0x3141
// CHECK: s_addk_i32 ttmp11, 0x3141               ; encoding: [0x41,0x31,0xfb,0xb7]

s_addk_i32 vcc_hi, 0x3141
// CHECK: s_addk_i32 vcc_hi, 0x3141               ; encoding: [0x41,0x31,0xeb,0xb7]

s_addk_i32 vcc_lo, 0x3141
// CHECK: s_addk_i32 vcc_lo, 0x3141               ; encoding: [0x41,0x31,0xea,0xb7]

s_cbranch_i_fork exec, 12609
// CHECK: s_cbranch_i_fork exec, 12609            ; encoding: [0x41,0x31,0xfe,0xb8]

s_cbranch_i_fork flat_scratch, 12609
// CHECK: s_cbranch_i_fork flat_scratch, 12609    ; encoding: [0x41,0x31,0xe8,0xb8]

s_cbranch_i_fork s[102:103], 12609
// CHECK: s_cbranch_i_fork s[102:103], 12609      ; encoding: [0x41,0x31,0xe6,0xb8]

s_cbranch_i_fork s[2:3], 12609
// CHECK: s_cbranch_i_fork s[2:3], 12609          ; encoding: [0x41,0x31,0x82,0xb8]

s_cbranch_i_fork s[2:3], 49617
// CHECK: s_cbranch_i_fork s[2:3], 49617          ; encoding: [0xd1,0xc1,0x82,0xb8]
	;; [unrolled: 3-line block ×3, first 2 shown]

s_cbranch_i_fork tba, 12609
// CHECK: s_cbranch_i_fork tba, 12609             ; encoding: [0x41,0x31,0xec,0xb8]

s_cbranch_i_fork tma, 12609
// CHECK: s_cbranch_i_fork tma, 12609             ; encoding: [0x41,0x31,0xee,0xb8]

s_cbranch_i_fork ttmp[10:11], 12609
// CHECK: s_cbranch_i_fork ttmp[10:11], 12609     ; encoding: [0x41,0x31,0xfa,0xb8]

s_cbranch_i_fork vcc, 12609
// CHECK: s_cbranch_i_fork vcc, 12609             ; encoding: [0x41,0x31,0xea,0xb8]

s_cmovk_i32 exec_hi, 0x3141
// CHECK: s_cmovk_i32 exec_hi, 0x3141             ; encoding: [0x41,0x31,0x7f,0xb1]

s_cmovk_i32 exec_lo, 0x3141
// CHECK: s_cmovk_i32 exec_lo, 0x3141             ; encoding: [0x41,0x31,0x7e,0xb1]

s_cmovk_i32 flat_scratch_hi, 0x3141
// CHECK: s_cmovk_i32 flat_scratch_hi, 0x3141     ; encoding: [0x41,0x31,0x69,0xb1]

s_cmovk_i32 flat_scratch_lo, 0x3141
// CHECK: s_cmovk_i32 flat_scratch_lo, 0x3141     ; encoding: [0x41,0x31,0x68,0xb1]

s_cmovk_i32 m0, 0x3141
// CHECK: s_cmovk_i32 m0, 0x3141                  ; encoding: [0x41,0x31,0x7c,0xb1]

s_cmovk_i32 s103, 0x3141
// CHECK: s_cmovk_i32 s103, 0x3141                ; encoding: [0x41,0x31,0x67,0xb1]

s_cmovk_i32 s5, 0x3141
// CHECK: s_cmovk_i32 s5, 0x3141                  ; encoding: [0x41,0x31,0x05,0xb1]

s_cmovk_i32 s5, 0xc1d1
// CHECK: s_cmovk_i32 s5, 0xc1d1                  ; encoding: [0xd1,0xc1,0x05,0xb1]

s_cmovk_i32 tba_hi, 0x3141
// CHECK: s_cmovk_i32 tba_hi, 0x3141              ; encoding: [0x41,0x31,0x6d,0xb1]

s_cmovk_i32 tba_lo, 0x3141
// CHECK: s_cmovk_i32 tba_lo, 0x3141              ; encoding: [0x41,0x31,0x6c,0xb1]

s_cmovk_i32 tma_hi, 0x3141
// CHECK: s_cmovk_i32 tma_hi, 0x3141              ; encoding: [0x41,0x31,0x6f,0xb1]

s_cmovk_i32 tma_lo, 0x3141
// CHECK: s_cmovk_i32 tma_lo, 0x3141              ; encoding: [0x41,0x31,0x6e,0xb1]

s_cmovk_i32 ttmp11, 0x3141
// CHECK: s_cmovk_i32 ttmp11, 0x3141              ; encoding: [0x41,0x31,0x7b,0xb1]

s_cmovk_i32 vcc_hi, 0x3141
// CHECK: s_cmovk_i32 vcc_hi, 0x3141              ; encoding: [0x41,0x31,0x6b,0xb1]

s_cmovk_i32 vcc_lo, 0x3141
// CHECK: s_cmovk_i32 vcc_lo, 0x3141              ; encoding: [0x41,0x31,0x6a,0xb1]

s_cmpk_eq_i32 exec_hi, 0x3141
// CHECK: s_cmpk_eq_i32 exec_hi, 0x3141           ; encoding: [0x41,0x31,0xff,0xb1]

s_cmpk_eq_i32 exec_lo, 0x3141
// CHECK: s_cmpk_eq_i32 exec_lo, 0x3141           ; encoding: [0x41,0x31,0xfe,0xb1]

s_cmpk_eq_i32 flat_scratch_hi, 0x3141
// CHECK: s_cmpk_eq_i32 flat_scratch_hi, 0x3141   ; encoding: [0x41,0x31,0xe9,0xb1]

s_cmpk_eq_i32 flat_scratch_lo, 0x3141
// CHECK: s_cmpk_eq_i32 flat_scratch_lo, 0x3141   ; encoding: [0x41,0x31,0xe8,0xb1]

s_cmpk_eq_i32 m0, 0x3141
// CHECK: s_cmpk_eq_i32 m0, 0x3141                ; encoding: [0x41,0x31,0xfc,0xb1]

s_cmpk_eq_i32 s1, 0x3141
// CHECK: s_cmpk_eq_i32 s1, 0x3141                ; encoding: [0x41,0x31,0x81,0xb1]
	;; [unrolled: 3-line block ×3, first 2 shown]

s_cmpk_eq_i32 s103, 0x3141
// CHECK: s_cmpk_eq_i32 s103, 0x3141              ; encoding: [0x41,0x31,0xe7,0xb1]

s_cmpk_eq_i32 tba_hi, 0x3141
// CHECK: s_cmpk_eq_i32 tba_hi, 0x3141            ; encoding: [0x41,0x31,0xed,0xb1]

s_cmpk_eq_i32 tba_lo, 0x3141
// CHECK: s_cmpk_eq_i32 tba_lo, 0x3141            ; encoding: [0x41,0x31,0xec,0xb1]

s_cmpk_eq_i32 tma_hi, 0x3141
// CHECK: s_cmpk_eq_i32 tma_hi, 0x3141            ; encoding: [0x41,0x31,0xef,0xb1]

s_cmpk_eq_i32 tma_lo, 0x3141
// CHECK: s_cmpk_eq_i32 tma_lo, 0x3141            ; encoding: [0x41,0x31,0xee,0xb1]

s_cmpk_eq_i32 ttmp11, 0x3141
// CHECK: s_cmpk_eq_i32 ttmp11, 0x3141            ; encoding: [0x41,0x31,0xfb,0xb1]

s_cmpk_eq_i32 vcc_hi, 0x3141
// CHECK: s_cmpk_eq_i32 vcc_hi, 0x3141            ; encoding: [0x41,0x31,0xeb,0xb1]

s_cmpk_eq_i32 vcc_lo, 0x3141
// CHECK: s_cmpk_eq_i32 vcc_lo, 0x3141            ; encoding: [0x41,0x31,0xea,0xb1]

s_cmpk_eq_u32 exec_hi, 0x3141
// CHECK: s_cmpk_eq_u32 exec_hi, 0x3141           ; encoding: [0x41,0x31,0xff,0xb4]

s_cmpk_eq_u32 exec_lo, 0x3141
// CHECK: s_cmpk_eq_u32 exec_lo, 0x3141           ; encoding: [0x41,0x31,0xfe,0xb4]

s_cmpk_eq_u32 flat_scratch_hi, 0x3141
// CHECK: s_cmpk_eq_u32 flat_scratch_hi, 0x3141   ; encoding: [0x41,0x31,0xe9,0xb4]

s_cmpk_eq_u32 flat_scratch_lo, 0x3141
// CHECK: s_cmpk_eq_u32 flat_scratch_lo, 0x3141   ; encoding: [0x41,0x31,0xe8,0xb4]

s_cmpk_eq_u32 m0, 0x3141
// CHECK: s_cmpk_eq_u32 m0, 0x3141                ; encoding: [0x41,0x31,0xfc,0xb4]

s_cmpk_eq_u32 s1, 0x3141
// CHECK: s_cmpk_eq_u32 s1, 0x3141                ; encoding: [0x41,0x31,0x81,0xb4]
	;; [unrolled: 3-line block ×3, first 2 shown]

s_cmpk_eq_u32 s103, 0x3141
// CHECK: s_cmpk_eq_u32 s103, 0x3141              ; encoding: [0x41,0x31,0xe7,0xb4]

s_cmpk_eq_u32 tba_hi, 0x3141
// CHECK: s_cmpk_eq_u32 tba_hi, 0x3141            ; encoding: [0x41,0x31,0xed,0xb4]

s_cmpk_eq_u32 tba_lo, 0x3141
// CHECK: s_cmpk_eq_u32 tba_lo, 0x3141            ; encoding: [0x41,0x31,0xec,0xb4]

s_cmpk_eq_u32 tma_hi, 0x3141
// CHECK: s_cmpk_eq_u32 tma_hi, 0x3141            ; encoding: [0x41,0x31,0xef,0xb4]

s_cmpk_eq_u32 tma_lo, 0x3141
// CHECK: s_cmpk_eq_u32 tma_lo, 0x3141            ; encoding: [0x41,0x31,0xee,0xb4]

s_cmpk_eq_u32 ttmp11, 0x3141
// CHECK: s_cmpk_eq_u32 ttmp11, 0x3141            ; encoding: [0x41,0x31,0xfb,0xb4]

s_cmpk_eq_u32 vcc_hi, 0x3141
// CHECK: s_cmpk_eq_u32 vcc_hi, 0x3141            ; encoding: [0x41,0x31,0xeb,0xb4]

s_cmpk_eq_u32 vcc_lo, 0x3141
// CHECK: s_cmpk_eq_u32 vcc_lo, 0x3141            ; encoding: [0x41,0x31,0xea,0xb4]

s_cmpk_ge_i32 exec_hi, 0x3141
// CHECK: s_cmpk_ge_i32 exec_hi, 0x3141           ; encoding: [0x41,0x31,0x7f,0xb3]

s_cmpk_ge_i32 exec_lo, 0x3141
// CHECK: s_cmpk_ge_i32 exec_lo, 0x3141           ; encoding: [0x41,0x31,0x7e,0xb3]

s_cmpk_ge_i32 flat_scratch_hi, 0x3141
// CHECK: s_cmpk_ge_i32 flat_scratch_hi, 0x3141   ; encoding: [0x41,0x31,0x69,0xb3]

s_cmpk_ge_i32 flat_scratch_lo, 0x3141
// CHECK: s_cmpk_ge_i32 flat_scratch_lo, 0x3141   ; encoding: [0x41,0x31,0x68,0xb3]

s_cmpk_ge_i32 m0, 0x3141
// CHECK: s_cmpk_ge_i32 m0, 0x3141                ; encoding: [0x41,0x31,0x7c,0xb3]

s_cmpk_ge_i32 s1, 0x3141
// CHECK: s_cmpk_ge_i32 s1, 0x3141                ; encoding: [0x41,0x31,0x01,0xb3]
	;; [unrolled: 3-line block ×3, first 2 shown]

s_cmpk_ge_i32 s103, 0x3141
// CHECK: s_cmpk_ge_i32 s103, 0x3141              ; encoding: [0x41,0x31,0x67,0xb3]

s_cmpk_ge_i32 tba_hi, 0x3141
// CHECK: s_cmpk_ge_i32 tba_hi, 0x3141            ; encoding: [0x41,0x31,0x6d,0xb3]

s_cmpk_ge_i32 tba_lo, 0x3141
// CHECK: s_cmpk_ge_i32 tba_lo, 0x3141            ; encoding: [0x41,0x31,0x6c,0xb3]

s_cmpk_ge_i32 tma_hi, 0x3141
// CHECK: s_cmpk_ge_i32 tma_hi, 0x3141            ; encoding: [0x41,0x31,0x6f,0xb3]

s_cmpk_ge_i32 tma_lo, 0x3141
// CHECK: s_cmpk_ge_i32 tma_lo, 0x3141            ; encoding: [0x41,0x31,0x6e,0xb3]

s_cmpk_ge_i32 ttmp11, 0x3141
// CHECK: s_cmpk_ge_i32 ttmp11, 0x3141            ; encoding: [0x41,0x31,0x7b,0xb3]

s_cmpk_ge_i32 vcc_hi, 0x3141
// CHECK: s_cmpk_ge_i32 vcc_hi, 0x3141            ; encoding: [0x41,0x31,0x6b,0xb3]

s_cmpk_ge_i32 vcc_lo, 0x3141
// CHECK: s_cmpk_ge_i32 vcc_lo, 0x3141            ; encoding: [0x41,0x31,0x6a,0xb3]

s_cmpk_ge_u32 exec_hi, 0x3141
// CHECK: s_cmpk_ge_u32 exec_hi, 0x3141           ; encoding: [0x41,0x31,0x7f,0xb6]

s_cmpk_ge_u32 exec_lo, 0x3141
// CHECK: s_cmpk_ge_u32 exec_lo, 0x3141           ; encoding: [0x41,0x31,0x7e,0xb6]

s_cmpk_ge_u32 flat_scratch_hi, 0x3141
// CHECK: s_cmpk_ge_u32 flat_scratch_hi, 0x3141   ; encoding: [0x41,0x31,0x69,0xb6]

s_cmpk_ge_u32 flat_scratch_lo, 0x3141
// CHECK: s_cmpk_ge_u32 flat_scratch_lo, 0x3141   ; encoding: [0x41,0x31,0x68,0xb6]

s_cmpk_ge_u32 m0, 0x3141
// CHECK: s_cmpk_ge_u32 m0, 0x3141                ; encoding: [0x41,0x31,0x7c,0xb6]

s_cmpk_ge_u32 s1, 0x3141
// CHECK: s_cmpk_ge_u32 s1, 0x3141                ; encoding: [0x41,0x31,0x01,0xb6]
	;; [unrolled: 3-line block ×3, first 2 shown]

s_cmpk_ge_u32 s103, 0x3141
// CHECK: s_cmpk_ge_u32 s103, 0x3141              ; encoding: [0x41,0x31,0x67,0xb6]

s_cmpk_ge_u32 tba_hi, 0x3141
// CHECK: s_cmpk_ge_u32 tba_hi, 0x3141            ; encoding: [0x41,0x31,0x6d,0xb6]

s_cmpk_ge_u32 tba_lo, 0x3141
// CHECK: s_cmpk_ge_u32 tba_lo, 0x3141            ; encoding: [0x41,0x31,0x6c,0xb6]

s_cmpk_ge_u32 tma_hi, 0x3141
// CHECK: s_cmpk_ge_u32 tma_hi, 0x3141            ; encoding: [0x41,0x31,0x6f,0xb6]

s_cmpk_ge_u32 tma_lo, 0x3141
// CHECK: s_cmpk_ge_u32 tma_lo, 0x3141            ; encoding: [0x41,0x31,0x6e,0xb6]

s_cmpk_ge_u32 ttmp11, 0x3141
// CHECK: s_cmpk_ge_u32 ttmp11, 0x3141            ; encoding: [0x41,0x31,0x7b,0xb6]

s_cmpk_ge_u32 vcc_hi, 0x3141
// CHECK: s_cmpk_ge_u32 vcc_hi, 0x3141            ; encoding: [0x41,0x31,0x6b,0xb6]

s_cmpk_ge_u32 vcc_lo, 0x3141
// CHECK: s_cmpk_ge_u32 vcc_lo, 0x3141            ; encoding: [0x41,0x31,0x6a,0xb6]

s_cmpk_gt_i32 exec_hi, 0x3141
// CHECK: s_cmpk_gt_i32 exec_hi, 0x3141           ; encoding: [0x41,0x31,0xff,0xb2]

s_cmpk_gt_i32 exec_lo, 0x3141
// CHECK: s_cmpk_gt_i32 exec_lo, 0x3141           ; encoding: [0x41,0x31,0xfe,0xb2]

s_cmpk_gt_i32 flat_scratch_hi, 0x3141
// CHECK: s_cmpk_gt_i32 flat_scratch_hi, 0x3141   ; encoding: [0x41,0x31,0xe9,0xb2]

s_cmpk_gt_i32 flat_scratch_lo, 0x3141
// CHECK: s_cmpk_gt_i32 flat_scratch_lo, 0x3141   ; encoding: [0x41,0x31,0xe8,0xb2]

s_cmpk_gt_i32 m0, 0x3141
// CHECK: s_cmpk_gt_i32 m0, 0x3141                ; encoding: [0x41,0x31,0xfc,0xb2]

s_cmpk_gt_i32 s1, 0x3141
// CHECK: s_cmpk_gt_i32 s1, 0x3141                ; encoding: [0x41,0x31,0x81,0xb2]
	;; [unrolled: 3-line block ×3, first 2 shown]

s_cmpk_gt_i32 s103, 0x3141
// CHECK: s_cmpk_gt_i32 s103, 0x3141              ; encoding: [0x41,0x31,0xe7,0xb2]

s_cmpk_gt_i32 tba_hi, 0x3141
// CHECK: s_cmpk_gt_i32 tba_hi, 0x3141            ; encoding: [0x41,0x31,0xed,0xb2]

s_cmpk_gt_i32 tba_lo, 0x3141
// CHECK: s_cmpk_gt_i32 tba_lo, 0x3141            ; encoding: [0x41,0x31,0xec,0xb2]

s_cmpk_gt_i32 tma_hi, 0x3141
// CHECK: s_cmpk_gt_i32 tma_hi, 0x3141            ; encoding: [0x41,0x31,0xef,0xb2]

s_cmpk_gt_i32 tma_lo, 0x3141
// CHECK: s_cmpk_gt_i32 tma_lo, 0x3141            ; encoding: [0x41,0x31,0xee,0xb2]

s_cmpk_gt_i32 ttmp11, 0x3141
// CHECK: s_cmpk_gt_i32 ttmp11, 0x3141            ; encoding: [0x41,0x31,0xfb,0xb2]

s_cmpk_gt_i32 vcc_hi, 0x3141
// CHECK: s_cmpk_gt_i32 vcc_hi, 0x3141            ; encoding: [0x41,0x31,0xeb,0xb2]

s_cmpk_gt_i32 vcc_lo, 0x3141
// CHECK: s_cmpk_gt_i32 vcc_lo, 0x3141            ; encoding: [0x41,0x31,0xea,0xb2]

s_cmpk_gt_u32 exec_hi, 0x3141
// CHECK: s_cmpk_gt_u32 exec_hi, 0x3141           ; encoding: [0x41,0x31,0xff,0xb5]

s_cmpk_gt_u32 exec_lo, 0x3141
// CHECK: s_cmpk_gt_u32 exec_lo, 0x3141           ; encoding: [0x41,0x31,0xfe,0xb5]

s_cmpk_gt_u32 flat_scratch_hi, 0x3141
// CHECK: s_cmpk_gt_u32 flat_scratch_hi, 0x3141   ; encoding: [0x41,0x31,0xe9,0xb5]

s_cmpk_gt_u32 flat_scratch_lo, 0x3141
// CHECK: s_cmpk_gt_u32 flat_scratch_lo, 0x3141   ; encoding: [0x41,0x31,0xe8,0xb5]

s_cmpk_gt_u32 m0, 0x3141
// CHECK: s_cmpk_gt_u32 m0, 0x3141                ; encoding: [0x41,0x31,0xfc,0xb5]

s_cmpk_gt_u32 s1, 0x3141
// CHECK: s_cmpk_gt_u32 s1, 0x3141                ; encoding: [0x41,0x31,0x81,0xb5]
	;; [unrolled: 3-line block ×3, first 2 shown]

s_cmpk_gt_u32 s103, 0x3141
// CHECK: s_cmpk_gt_u32 s103, 0x3141              ; encoding: [0x41,0x31,0xe7,0xb5]

s_cmpk_gt_u32 tba_hi, 0x3141
// CHECK: s_cmpk_gt_u32 tba_hi, 0x3141            ; encoding: [0x41,0x31,0xed,0xb5]

s_cmpk_gt_u32 tba_lo, 0x3141
// CHECK: s_cmpk_gt_u32 tba_lo, 0x3141            ; encoding: [0x41,0x31,0xec,0xb5]

s_cmpk_gt_u32 tma_hi, 0x3141
// CHECK: s_cmpk_gt_u32 tma_hi, 0x3141            ; encoding: [0x41,0x31,0xef,0xb5]

s_cmpk_gt_u32 tma_lo, 0x3141
// CHECK: s_cmpk_gt_u32 tma_lo, 0x3141            ; encoding: [0x41,0x31,0xee,0xb5]

s_cmpk_gt_u32 ttmp11, 0x3141
// CHECK: s_cmpk_gt_u32 ttmp11, 0x3141            ; encoding: [0x41,0x31,0xfb,0xb5]

s_cmpk_gt_u32 vcc_hi, 0x3141
// CHECK: s_cmpk_gt_u32 vcc_hi, 0x3141            ; encoding: [0x41,0x31,0xeb,0xb5]

s_cmpk_gt_u32 vcc_lo, 0x3141
// CHECK: s_cmpk_gt_u32 vcc_lo, 0x3141            ; encoding: [0x41,0x31,0xea,0xb5]

s_cmpk_le_i32 exec_hi, 0x3141
// CHECK: s_cmpk_le_i32 exec_hi, 0x3141           ; encoding: [0x41,0x31,0x7f,0xb4]

s_cmpk_le_i32 exec_lo, 0x3141
// CHECK: s_cmpk_le_i32 exec_lo, 0x3141           ; encoding: [0x41,0x31,0x7e,0xb4]

s_cmpk_le_i32 flat_scratch_hi, 0x3141
// CHECK: s_cmpk_le_i32 flat_scratch_hi, 0x3141   ; encoding: [0x41,0x31,0x69,0xb4]

s_cmpk_le_i32 flat_scratch_lo, 0x3141
// CHECK: s_cmpk_le_i32 flat_scratch_lo, 0x3141   ; encoding: [0x41,0x31,0x68,0xb4]

s_cmpk_le_i32 m0, 0x3141
// CHECK: s_cmpk_le_i32 m0, 0x3141                ; encoding: [0x41,0x31,0x7c,0xb4]

s_cmpk_le_i32 s1, 0x3141
// CHECK: s_cmpk_le_i32 s1, 0x3141                ; encoding: [0x41,0x31,0x01,0xb4]

s_cmpk_le_i32 s1, 0xc1d1
// CHECK: s_cmpk_le_i32 s1, 0xc1d1                ; encoding: [0xd1,0xc1,0x01,0xb4]

s_cmpk_le_i32 s103, 0x3141
// CHECK: s_cmpk_le_i32 s103, 0x3141              ; encoding: [0x41,0x31,0x67,0xb4]

s_cmpk_le_i32 tba_hi, 0x3141
// CHECK: s_cmpk_le_i32 tba_hi, 0x3141            ; encoding: [0x41,0x31,0x6d,0xb4]

s_cmpk_le_i32 tba_lo, 0x3141
// CHECK: s_cmpk_le_i32 tba_lo, 0x3141            ; encoding: [0x41,0x31,0x6c,0xb4]

s_cmpk_le_i32 tma_hi, 0x3141
// CHECK: s_cmpk_le_i32 tma_hi, 0x3141            ; encoding: [0x41,0x31,0x6f,0xb4]

s_cmpk_le_i32 tma_lo, 0x3141
// CHECK: s_cmpk_le_i32 tma_lo, 0x3141            ; encoding: [0x41,0x31,0x6e,0xb4]

s_cmpk_le_i32 ttmp11, 0x3141
// CHECK: s_cmpk_le_i32 ttmp11, 0x3141            ; encoding: [0x41,0x31,0x7b,0xb4]

s_cmpk_le_i32 vcc_hi, 0x3141
// CHECK: s_cmpk_le_i32 vcc_hi, 0x3141            ; encoding: [0x41,0x31,0x6b,0xb4]

s_cmpk_le_i32 vcc_lo, 0x3141
// CHECK: s_cmpk_le_i32 vcc_lo, 0x3141            ; encoding: [0x41,0x31,0x6a,0xb4]

s_cmpk_le_u32 exec_hi, 0x3141
// CHECK: s_cmpk_le_u32 exec_hi, 0x3141           ; encoding: [0x41,0x31,0x7f,0xb7]

s_cmpk_le_u32 exec_lo, 0x3141
// CHECK: s_cmpk_le_u32 exec_lo, 0x3141           ; encoding: [0x41,0x31,0x7e,0xb7]

s_cmpk_le_u32 flat_scratch_hi, 0x3141
// CHECK: s_cmpk_le_u32 flat_scratch_hi, 0x3141   ; encoding: [0x41,0x31,0x69,0xb7]

s_cmpk_le_u32 flat_scratch_lo, 0x3141
// CHECK: s_cmpk_le_u32 flat_scratch_lo, 0x3141   ; encoding: [0x41,0x31,0x68,0xb7]

s_cmpk_le_u32 m0, 0x3141
// CHECK: s_cmpk_le_u32 m0, 0x3141                ; encoding: [0x41,0x31,0x7c,0xb7]

s_cmpk_le_u32 s1, 0x3141
// CHECK: s_cmpk_le_u32 s1, 0x3141                ; encoding: [0x41,0x31,0x01,0xb7]
	;; [unrolled: 3-line block ×3, first 2 shown]

s_cmpk_le_u32 s103, 0x3141
// CHECK: s_cmpk_le_u32 s103, 0x3141              ; encoding: [0x41,0x31,0x67,0xb7]

s_cmpk_le_u32 tba_hi, 0x3141
// CHECK: s_cmpk_le_u32 tba_hi, 0x3141            ; encoding: [0x41,0x31,0x6d,0xb7]

s_cmpk_le_u32 tba_lo, 0x3141
// CHECK: s_cmpk_le_u32 tba_lo, 0x3141            ; encoding: [0x41,0x31,0x6c,0xb7]

s_cmpk_le_u32 tma_hi, 0x3141
// CHECK: s_cmpk_le_u32 tma_hi, 0x3141            ; encoding: [0x41,0x31,0x6f,0xb7]

s_cmpk_le_u32 tma_lo, 0x3141
// CHECK: s_cmpk_le_u32 tma_lo, 0x3141            ; encoding: [0x41,0x31,0x6e,0xb7]

s_cmpk_le_u32 ttmp11, 0x3141
// CHECK: s_cmpk_le_u32 ttmp11, 0x3141            ; encoding: [0x41,0x31,0x7b,0xb7]

s_cmpk_le_u32 vcc_hi, 0x3141
// CHECK: s_cmpk_le_u32 vcc_hi, 0x3141            ; encoding: [0x41,0x31,0x6b,0xb7]

s_cmpk_le_u32 vcc_lo, 0x3141
// CHECK: s_cmpk_le_u32 vcc_lo, 0x3141            ; encoding: [0x41,0x31,0x6a,0xb7]

s_cmpk_lg_i32 exec_hi, 0x3141
// CHECK: s_cmpk_lg_i32 exec_hi, 0x3141           ; encoding: [0x41,0x31,0x7f,0xb2]

s_cmpk_lg_i32 exec_lo, 0x3141
// CHECK: s_cmpk_lg_i32 exec_lo, 0x3141           ; encoding: [0x41,0x31,0x7e,0xb2]

s_cmpk_lg_i32 flat_scratch_hi, 0x3141
// CHECK: s_cmpk_lg_i32 flat_scratch_hi, 0x3141   ; encoding: [0x41,0x31,0x69,0xb2]

s_cmpk_lg_i32 flat_scratch_lo, 0x3141
// CHECK: s_cmpk_lg_i32 flat_scratch_lo, 0x3141   ; encoding: [0x41,0x31,0x68,0xb2]

s_cmpk_lg_i32 m0, 0x3141
// CHECK: s_cmpk_lg_i32 m0, 0x3141                ; encoding: [0x41,0x31,0x7c,0xb2]

s_cmpk_lg_i32 s1, 0x3141
// CHECK: s_cmpk_lg_i32 s1, 0x3141                ; encoding: [0x41,0x31,0x01,0xb2]

s_cmpk_lg_i32 s1, 0xc1d1
// CHECK: s_cmpk_lg_i32 s1, 0xc1d1                ; encoding: [0xd1,0xc1,0x01,0xb2]

s_cmpk_lg_i32 s103, 0x3141
// CHECK: s_cmpk_lg_i32 s103, 0x3141              ; encoding: [0x41,0x31,0x67,0xb2]

s_cmpk_lg_i32 tba_hi, 0x3141
// CHECK: s_cmpk_lg_i32 tba_hi, 0x3141            ; encoding: [0x41,0x31,0x6d,0xb2]

s_cmpk_lg_i32 tba_lo, 0x3141
// CHECK: s_cmpk_lg_i32 tba_lo, 0x3141            ; encoding: [0x41,0x31,0x6c,0xb2]

s_cmpk_lg_i32 tma_hi, 0x3141
// CHECK: s_cmpk_lg_i32 tma_hi, 0x3141            ; encoding: [0x41,0x31,0x6f,0xb2]

s_cmpk_lg_i32 tma_lo, 0x3141
// CHECK: s_cmpk_lg_i32 tma_lo, 0x3141            ; encoding: [0x41,0x31,0x6e,0xb2]

s_cmpk_lg_i32 ttmp11, 0x3141
// CHECK: s_cmpk_lg_i32 ttmp11, 0x3141            ; encoding: [0x41,0x31,0x7b,0xb2]

s_cmpk_lg_i32 vcc_hi, 0x3141
// CHECK: s_cmpk_lg_i32 vcc_hi, 0x3141            ; encoding: [0x41,0x31,0x6b,0xb2]

s_cmpk_lg_i32 vcc_lo, 0x3141
// CHECK: s_cmpk_lg_i32 vcc_lo, 0x3141            ; encoding: [0x41,0x31,0x6a,0xb2]

s_cmpk_lg_u32 exec_hi, 0x3141
// CHECK: s_cmpk_lg_u32 exec_hi, 0x3141           ; encoding: [0x41,0x31,0x7f,0xb5]

s_cmpk_lg_u32 exec_lo, 0x3141
// CHECK: s_cmpk_lg_u32 exec_lo, 0x3141           ; encoding: [0x41,0x31,0x7e,0xb5]

s_cmpk_lg_u32 flat_scratch_hi, 0x3141
// CHECK: s_cmpk_lg_u32 flat_scratch_hi, 0x3141   ; encoding: [0x41,0x31,0x69,0xb5]

s_cmpk_lg_u32 flat_scratch_lo, 0x3141
// CHECK: s_cmpk_lg_u32 flat_scratch_lo, 0x3141   ; encoding: [0x41,0x31,0x68,0xb5]

s_cmpk_lg_u32 m0, 0x3141
// CHECK: s_cmpk_lg_u32 m0, 0x3141                ; encoding: [0x41,0x31,0x7c,0xb5]

s_cmpk_lg_u32 s1, 0x3141
// CHECK: s_cmpk_lg_u32 s1, 0x3141                ; encoding: [0x41,0x31,0x01,0xb5]

s_cmpk_lg_u32 s1, 0xc1d1
// CHECK: s_cmpk_lg_u32 s1, 0xc1d1                ; encoding: [0xd1,0xc1,0x01,0xb5]

s_cmpk_lg_u32 s103, 0x3141
// CHECK: s_cmpk_lg_u32 s103, 0x3141              ; encoding: [0x41,0x31,0x67,0xb5]

s_cmpk_lg_u32 tba_hi, 0x3141
// CHECK: s_cmpk_lg_u32 tba_hi, 0x3141            ; encoding: [0x41,0x31,0x6d,0xb5]

s_cmpk_lg_u32 tba_lo, 0x3141
// CHECK: s_cmpk_lg_u32 tba_lo, 0x3141            ; encoding: [0x41,0x31,0x6c,0xb5]

s_cmpk_lg_u32 tma_hi, 0x3141
// CHECK: s_cmpk_lg_u32 tma_hi, 0x3141            ; encoding: [0x41,0x31,0x6f,0xb5]

s_cmpk_lg_u32 tma_lo, 0x3141
// CHECK: s_cmpk_lg_u32 tma_lo, 0x3141            ; encoding: [0x41,0x31,0x6e,0xb5]

s_cmpk_lg_u32 ttmp11, 0x3141
// CHECK: s_cmpk_lg_u32 ttmp11, 0x3141            ; encoding: [0x41,0x31,0x7b,0xb5]

s_cmpk_lg_u32 vcc_hi, 0x3141
// CHECK: s_cmpk_lg_u32 vcc_hi, 0x3141            ; encoding: [0x41,0x31,0x6b,0xb5]

s_cmpk_lg_u32 vcc_lo, 0x3141
// CHECK: s_cmpk_lg_u32 vcc_lo, 0x3141            ; encoding: [0x41,0x31,0x6a,0xb5]

s_cmpk_lt_i32 exec_hi, 0x3141
// CHECK: s_cmpk_lt_i32 exec_hi, 0x3141           ; encoding: [0x41,0x31,0xff,0xb3]

s_cmpk_lt_i32 exec_lo, 0x3141
// CHECK: s_cmpk_lt_i32 exec_lo, 0x3141           ; encoding: [0x41,0x31,0xfe,0xb3]

s_cmpk_lt_i32 flat_scratch_hi, 0x3141
// CHECK: s_cmpk_lt_i32 flat_scratch_hi, 0x3141   ; encoding: [0x41,0x31,0xe9,0xb3]

s_cmpk_lt_i32 flat_scratch_lo, 0x3141
// CHECK: s_cmpk_lt_i32 flat_scratch_lo, 0x3141   ; encoding: [0x41,0x31,0xe8,0xb3]

s_cmpk_lt_i32 m0, 0x3141
// CHECK: s_cmpk_lt_i32 m0, 0x3141                ; encoding: [0x41,0x31,0xfc,0xb3]

s_cmpk_lt_i32 s1, 0x3141
// CHECK: s_cmpk_lt_i32 s1, 0x3141                ; encoding: [0x41,0x31,0x81,0xb3]
	;; [unrolled: 3-line block ×3, first 2 shown]

s_cmpk_lt_i32 s103, 0x3141
// CHECK: s_cmpk_lt_i32 s103, 0x3141              ; encoding: [0x41,0x31,0xe7,0xb3]

s_cmpk_lt_i32 tba_hi, 0x3141
// CHECK: s_cmpk_lt_i32 tba_hi, 0x3141            ; encoding: [0x41,0x31,0xed,0xb3]

s_cmpk_lt_i32 tba_lo, 0x3141
// CHECK: s_cmpk_lt_i32 tba_lo, 0x3141            ; encoding: [0x41,0x31,0xec,0xb3]

s_cmpk_lt_i32 tma_hi, 0x3141
// CHECK: s_cmpk_lt_i32 tma_hi, 0x3141            ; encoding: [0x41,0x31,0xef,0xb3]

s_cmpk_lt_i32 tma_lo, 0x3141
// CHECK: s_cmpk_lt_i32 tma_lo, 0x3141            ; encoding: [0x41,0x31,0xee,0xb3]

s_cmpk_lt_i32 ttmp11, 0x3141
// CHECK: s_cmpk_lt_i32 ttmp11, 0x3141            ; encoding: [0x41,0x31,0xfb,0xb3]

s_cmpk_lt_i32 vcc_hi, 0x3141
// CHECK: s_cmpk_lt_i32 vcc_hi, 0x3141            ; encoding: [0x41,0x31,0xeb,0xb3]

s_cmpk_lt_i32 vcc_lo, 0x3141
// CHECK: s_cmpk_lt_i32 vcc_lo, 0x3141            ; encoding: [0x41,0x31,0xea,0xb3]

s_cmpk_lt_u32 exec_hi, 0x3141
// CHECK: s_cmpk_lt_u32 exec_hi, 0x3141           ; encoding: [0x41,0x31,0xff,0xb6]

s_cmpk_lt_u32 exec_lo, 0x3141
// CHECK: s_cmpk_lt_u32 exec_lo, 0x3141           ; encoding: [0x41,0x31,0xfe,0xb6]

s_cmpk_lt_u32 flat_scratch_hi, 0x3141
// CHECK: s_cmpk_lt_u32 flat_scratch_hi, 0x3141   ; encoding: [0x41,0x31,0xe9,0xb6]

s_cmpk_lt_u32 flat_scratch_lo, 0x3141
// CHECK: s_cmpk_lt_u32 flat_scratch_lo, 0x3141   ; encoding: [0x41,0x31,0xe8,0xb6]

s_cmpk_lt_u32 m0, 0x3141
// CHECK: s_cmpk_lt_u32 m0, 0x3141                ; encoding: [0x41,0x31,0xfc,0xb6]

s_cmpk_lt_u32 s1, 0x3141
// CHECK: s_cmpk_lt_u32 s1, 0x3141                ; encoding: [0x41,0x31,0x81,0xb6]
	;; [unrolled: 3-line block ×3, first 2 shown]

s_cmpk_lt_u32 s103, 0x3141
// CHECK: s_cmpk_lt_u32 s103, 0x3141              ; encoding: [0x41,0x31,0xe7,0xb6]

s_cmpk_lt_u32 tba_hi, 0x3141
// CHECK: s_cmpk_lt_u32 tba_hi, 0x3141            ; encoding: [0x41,0x31,0xed,0xb6]

s_cmpk_lt_u32 tba_lo, 0x3141
// CHECK: s_cmpk_lt_u32 tba_lo, 0x3141            ; encoding: [0x41,0x31,0xec,0xb6]

s_cmpk_lt_u32 tma_hi, 0x3141
// CHECK: s_cmpk_lt_u32 tma_hi, 0x3141            ; encoding: [0x41,0x31,0xef,0xb6]

s_cmpk_lt_u32 tma_lo, 0x3141
// CHECK: s_cmpk_lt_u32 tma_lo, 0x3141            ; encoding: [0x41,0x31,0xee,0xb6]

s_cmpk_lt_u32 ttmp11, 0x3141
// CHECK: s_cmpk_lt_u32 ttmp11, 0x3141            ; encoding: [0x41,0x31,0xfb,0xb6]

s_cmpk_lt_u32 vcc_hi, 0x3141
// CHECK: s_cmpk_lt_u32 vcc_hi, 0x3141            ; encoding: [0x41,0x31,0xeb,0xb6]

s_cmpk_lt_u32 vcc_lo, 0x3141
// CHECK: s_cmpk_lt_u32 vcc_lo, 0x3141            ; encoding: [0x41,0x31,0xea,0xb6]

s_getreg_b32 exec_hi, 0x3141
// CHECK: s_getreg_b32 exec_hi, hwreg(HW_REG_MODE, 5, 7) ; encoding: [0x41,0x31,0x7f,0xb9]

s_getreg_b32 exec_lo, 0x3141
// CHECK: s_getreg_b32 exec_lo, hwreg(HW_REG_MODE, 5, 7) ; encoding: [0x41,0x31,0x7e,0xb9]

s_getreg_b32 flat_scratch_hi, 0x3141
// CHECK: s_getreg_b32 flat_scratch_hi, hwreg(HW_REG_MODE, 5, 7) ; encoding: [0x41,0x31,0x69,0xb9]

s_getreg_b32 flat_scratch_lo, 0x3141
// CHECK: s_getreg_b32 flat_scratch_lo, hwreg(HW_REG_MODE, 5, 7) ; encoding: [0x41,0x31,0x68,0xb9]

s_getreg_b32 m0, 0x3141
// CHECK: s_getreg_b32 m0, hwreg(HW_REG_MODE, 5, 7) ; encoding: [0x41,0x31,0x7c,0xb9]

s_getreg_b32 s103, 0x3141
// CHECK: s_getreg_b32 s103, hwreg(HW_REG_MODE, 5, 7) ; encoding: [0x41,0x31,0x67,0xb9]
	;; [unrolled: 3-line block ×3, first 2 shown]

s_getreg_b32 s5, 0xc1d1
// CHECK: s_getreg_b32 s5, hwreg(17, 7, 25)       ; encoding: [0xd1,0xc1,0x05,0xb9]

s_getreg_b32 tba_hi, 0x3141
// CHECK: s_getreg_b32 tba_hi, hwreg(HW_REG_MODE, 5, 7) ; encoding: [0x41,0x31,0x6d,0xb9]

s_getreg_b32 tba_lo, 0x3141
// CHECK: s_getreg_b32 tba_lo, hwreg(HW_REG_MODE, 5, 7) ; encoding: [0x41,0x31,0x6c,0xb9]

s_getreg_b32 tma_hi, 0x3141
// CHECK: s_getreg_b32 tma_hi, hwreg(HW_REG_MODE, 5, 7) ; encoding: [0x41,0x31,0x6f,0xb9]

s_getreg_b32 tma_lo, 0x3141
// CHECK: s_getreg_b32 tma_lo, hwreg(HW_REG_MODE, 5, 7) ; encoding: [0x41,0x31,0x6e,0xb9]

s_getreg_b32 ttmp11, 0x3141
// CHECK: s_getreg_b32 ttmp11, hwreg(HW_REG_MODE, 5, 7) ; encoding: [0x41,0x31,0x7b,0xb9]

s_getreg_b32 vcc_hi, 0x3141
// CHECK: s_getreg_b32 vcc_hi, hwreg(HW_REG_MODE, 5, 7) ; encoding: [0x41,0x31,0x6b,0xb9]

s_getreg_b32 vcc_lo, 0x3141
// CHECK: s_getreg_b32 vcc_lo, hwreg(HW_REG_MODE, 5, 7) ; encoding: [0x41,0x31,0x6a,0xb9]

s_movk_i32 exec_hi, 0x3141
// CHECK: s_movk_i32 exec_hi, 0x3141              ; encoding: [0x41,0x31,0x7f,0xb0]

s_movk_i32 exec_lo, 0x3141
// CHECK: s_movk_i32 exec_lo, 0x3141              ; encoding: [0x41,0x31,0x7e,0xb0]

s_movk_i32 flat_scratch_hi, 0x3141
// CHECK: s_movk_i32 flat_scratch_hi, 0x3141      ; encoding: [0x41,0x31,0x69,0xb0]

s_movk_i32 flat_scratch_lo, 0x3141
// CHECK: s_movk_i32 flat_scratch_lo, 0x3141      ; encoding: [0x41,0x31,0x68,0xb0]

s_movk_i32 m0, 0x3141
// CHECK: s_movk_i32 m0, 0x3141                   ; encoding: [0x41,0x31,0x7c,0xb0]

s_movk_i32 s103, 0x3141
// CHECK: s_movk_i32 s103, 0x3141                 ; encoding: [0x41,0x31,0x67,0xb0]

s_movk_i32 s5, 0x3141
// CHECK: s_movk_i32 s5, 0x3141                   ; encoding: [0x41,0x31,0x05,0xb0]

s_movk_i32 s5, 0xc1d1
// CHECK: s_movk_i32 s5, 0xc1d1                   ; encoding: [0xd1,0xc1,0x05,0xb0]

s_movk_i32 tba_hi, 0x3141
// CHECK: s_movk_i32 tba_hi, 0x3141               ; encoding: [0x41,0x31,0x6d,0xb0]

s_movk_i32 tba_lo, 0x3141
// CHECK: s_movk_i32 tba_lo, 0x3141               ; encoding: [0x41,0x31,0x6c,0xb0]

s_movk_i32 tma_hi, 0x3141
// CHECK: s_movk_i32 tma_hi, 0x3141               ; encoding: [0x41,0x31,0x6f,0xb0]

s_movk_i32 tma_lo, 0x3141
// CHECK: s_movk_i32 tma_lo, 0x3141               ; encoding: [0x41,0x31,0x6e,0xb0]

s_movk_i32 ttmp11, 0x3141
// CHECK: s_movk_i32 ttmp11, 0x3141               ; encoding: [0x41,0x31,0x7b,0xb0]

s_movk_i32 vcc_hi, 0x3141
// CHECK: s_movk_i32 vcc_hi, 0x3141               ; encoding: [0x41,0x31,0x6b,0xb0]

s_movk_i32 vcc_lo, 0x3141
// CHECK: s_movk_i32 vcc_lo, 0x3141               ; encoding: [0x41,0x31,0x6a,0xb0]

s_mulk_i32 exec_hi, 0x3141
// CHECK: s_mulk_i32 exec_hi, 0x3141              ; encoding: [0x41,0x31,0x7f,0xb8]

s_mulk_i32 exec_lo, 0x3141
// CHECK: s_mulk_i32 exec_lo, 0x3141              ; encoding: [0x41,0x31,0x7e,0xb8]

s_mulk_i32 flat_scratch_hi, 0x3141
// CHECK: s_mulk_i32 flat_scratch_hi, 0x3141      ; encoding: [0x41,0x31,0x69,0xb8]

s_mulk_i32 flat_scratch_lo, 0x3141
// CHECK: s_mulk_i32 flat_scratch_lo, 0x3141      ; encoding: [0x41,0x31,0x68,0xb8]

s_mulk_i32 m0, 0x3141
// CHECK: s_mulk_i32 m0, 0x3141                   ; encoding: [0x41,0x31,0x7c,0xb8]

s_mulk_i32 s103, 0x3141
// CHECK: s_mulk_i32 s103, 0x3141                 ; encoding: [0x41,0x31,0x67,0xb8]

s_mulk_i32 s5, 0x3141
// CHECK: s_mulk_i32 s5, 0x3141                   ; encoding: [0x41,0x31,0x05,0xb8]

s_mulk_i32 s5, 0xc1d1
// CHECK: s_mulk_i32 s5, 0xc1d1                   ; encoding: [0xd1,0xc1,0x05,0xb8]

s_mulk_i32 tba_hi, 0x3141
// CHECK: s_mulk_i32 tba_hi, 0x3141               ; encoding: [0x41,0x31,0x6d,0xb8]

s_mulk_i32 tba_lo, 0x3141
// CHECK: s_mulk_i32 tba_lo, 0x3141               ; encoding: [0x41,0x31,0x6c,0xb8]

s_mulk_i32 tma_hi, 0x3141
// CHECK: s_mulk_i32 tma_hi, 0x3141               ; encoding: [0x41,0x31,0x6f,0xb8]

s_mulk_i32 tma_lo, 0x3141
// CHECK: s_mulk_i32 tma_lo, 0x3141               ; encoding: [0x41,0x31,0x6e,0xb8]

s_mulk_i32 ttmp11, 0x3141
// CHECK: s_mulk_i32 ttmp11, 0x3141               ; encoding: [0x41,0x31,0x7b,0xb8]

s_mulk_i32 vcc_hi, 0x3141
// CHECK: s_mulk_i32 vcc_hi, 0x3141               ; encoding: [0x41,0x31,0x6b,0xb8]

s_mulk_i32 vcc_lo, 0x3141
// CHECK: s_mulk_i32 vcc_lo, 0x3141               ; encoding: [0x41,0x31,0x6a,0xb8]

s_setreg_b32 0x3141, exec_hi
// CHECK: s_setreg_b32 hwreg(HW_REG_MODE, 5, 7), exec_hi ; encoding: [0x41,0x31,0xff,0xb9]

s_setreg_b32 0x3141, exec_lo
// CHECK: s_setreg_b32 hwreg(HW_REG_MODE, 5, 7), exec_lo ; encoding: [0x41,0x31,0xfe,0xb9]

s_setreg_b32 0x3141, flat_scratch_hi
// CHECK: s_setreg_b32 hwreg(HW_REG_MODE, 5, 7), flat_scratch_hi ; encoding: [0x41,0x31,0xe9,0xb9]

s_setreg_b32 0x3141, flat_scratch_lo
// CHECK: s_setreg_b32 hwreg(HW_REG_MODE, 5, 7), flat_scratch_lo ; encoding: [0x41,0x31,0xe8,0xb9]

s_setreg_b32 0x3141, m0
// CHECK: s_setreg_b32 hwreg(HW_REG_MODE, 5, 7), m0 ; encoding: [0x41,0x31,0xfc,0xb9]

s_setreg_b32 0x3141, s1
// CHECK: s_setreg_b32 hwreg(HW_REG_MODE, 5, 7), s1 ; encoding: [0x41,0x31,0x81,0xb9]
	;; [unrolled: 3-line block ×3, first 2 shown]

s_setreg_b32 0x3141, tba_hi
// CHECK: s_setreg_b32 hwreg(HW_REG_MODE, 5, 7), tba_hi ; encoding: [0x41,0x31,0xed,0xb9]

s_setreg_b32 0x3141, tba_lo
// CHECK: s_setreg_b32 hwreg(HW_REG_MODE, 5, 7), tba_lo ; encoding: [0x41,0x31,0xec,0xb9]

s_setreg_b32 0x3141, tma_hi
// CHECK: s_setreg_b32 hwreg(HW_REG_MODE, 5, 7), tma_hi ; encoding: [0x41,0x31,0xef,0xb9]

s_setreg_b32 0x3141, tma_lo
// CHECK: s_setreg_b32 hwreg(HW_REG_MODE, 5, 7), tma_lo ; encoding: [0x41,0x31,0xee,0xb9]

s_setreg_b32 0x3141, ttmp11
// CHECK: s_setreg_b32 hwreg(HW_REG_MODE, 5, 7), ttmp11 ; encoding: [0x41,0x31,0xfb,0xb9]

s_setreg_b32 0x3141, vcc_hi
// CHECK: s_setreg_b32 hwreg(HW_REG_MODE, 5, 7), vcc_hi ; encoding: [0x41,0x31,0xeb,0xb9]

s_setreg_b32 0x3141, vcc_lo
// CHECK: s_setreg_b32 hwreg(HW_REG_MODE, 5, 7), vcc_lo ; encoding: [0x41,0x31,0xea,0xb9]

s_setreg_b32 0xc1d1, s1
// CHECK: s_setreg_b32 hwreg(17, 7, 25), s1       ; encoding: [0xd1,0xc1,0x81,0xb9]

s_setreg_imm32_b32 0x3141, 0x11213141
// CHECK: s_setreg_imm32_b32 hwreg(HW_REG_MODE, 5, 7), 0x11213141 ; encoding: [0x41,0x31,0x80,0xba,0x41,0x31,0x21,0x11]

s_setreg_imm32_b32 0x3141, 0xa1b1c1d1
// CHECK: s_setreg_imm32_b32 hwreg(HW_REG_MODE, 5, 7), 0xa1b1c1d1 ; encoding: [0x41,0x31,0x80,0xba,0xd1,0xc1,0xb1,0xa1]

s_setreg_imm32_b32 0xc1d1, 0x11213141
// CHECK: s_setreg_imm32_b32 hwreg(17, 7, 25), 0x11213141 ; encoding: [0xd1,0xc1,0x80,0xba,0x41,0x31,0x21,0x11]
